;; amdgpu-corpus repo=ROCm/rocFFT kind=compiled arch=gfx1030 opt=O3
	.text
	.amdgcn_target "amdgcn-amd-amdhsa--gfx1030"
	.amdhsa_code_object_version 6
	.protected	bluestein_single_fwd_len14_dim1_dp_op_CI_CI ; -- Begin function bluestein_single_fwd_len14_dim1_dp_op_CI_CI
	.globl	bluestein_single_fwd_len14_dim1_dp_op_CI_CI
	.p2align	8
	.type	bluestein_single_fwd_len14_dim1_dp_op_CI_CI,@function
bluestein_single_fwd_len14_dim1_dp_op_CI_CI: ; @bluestein_single_fwd_len14_dim1_dp_op_CI_CI
; %bb.0:
	s_load_dwordx4 s[0:3], s[4:5], 0x28
	v_mul_u32_u24_e32 v1, 0x2493, v0
	v_lshrrev_b32_e32 v1, 16, v1
	v_mad_u64_u32 v[32:33], null, s6, 18, v[1:2]
	v_mov_b32_e32 v33, 0
	s_waitcnt lgkmcnt(0)
	v_cmp_gt_u64_e32 vcc_lo, s[0:1], v[32:33]
	s_and_saveexec_b32 s0, vcc_lo
	s_cbranch_execz .LBB0_15
; %bb.1:
	v_mul_hi_u32 v2, 0x38e38e39, v32
	v_mul_lo_u16 v1, v1, 7
	s_clause 0x1
	s_load_dwordx2 s[12:13], s[4:5], 0x0
	s_load_dwordx2 s[6:7], s[4:5], 0x38
	v_sub_nc_u16 v0, v0, v1
	v_lshrrev_b32_e32 v2, 2, v2
	v_and_b32_e32 v33, 0xffff, v0
	v_cmp_gt_u16_e32 vcc_lo, 2, v0
	v_mul_lo_u32 v2, v2, 18
	v_lshlrev_b32_e32 v41, 4, v33
	v_or_b32_e32 v34, 2, v33
	v_or_b32_e32 v35, 4, v33
	;; [unrolled: 1-line block ×4, first 2 shown]
	v_sub_nc_u32_e32 v1, v32, v2
	v_or_b32_e32 v38, 10, v33
	v_or_b32_e32 v39, 12, v33
	v_mul_u32_u24_e32 v40, 14, v1
	v_or_b32_e32 v0, v40, v33
	v_lshlrev_b32_e32 v42, 4, v0
	s_and_saveexec_b32 s1, vcc_lo
	s_cbranch_execz .LBB0_3
; %bb.2:
	s_load_dwordx2 s[8:9], s[4:5], 0x18
	s_waitcnt lgkmcnt(0)
	s_load_dwordx4 s[8:11], s[8:9], 0x0
	s_clause 0x3
	global_load_dwordx4 v[0:3], v41, s[12:13]
	global_load_dwordx4 v[4:7], v41, s[12:13] offset:32
	global_load_dwordx4 v[8:11], v41, s[12:13] offset:64
	;; [unrolled: 1-line block ×3, first 2 shown]
	s_waitcnt lgkmcnt(0)
	v_mad_u64_u32 v[16:17], null, s10, v32, 0
	v_mad_u64_u32 v[18:19], null, s8, v33, 0
	;; [unrolled: 1-line block ×10, first 2 shown]
	v_mov_b32_e32 v17, v43
	v_mad_u64_u32 v[28:29], null, s8, v38, 0
	v_mov_b32_e32 v30, v48
	v_mad_u64_u32 v[48:49], null, s9, v35, v[23:24]
	v_mov_b32_e32 v19, v44
	v_lshlrev_b64 v[16:17], 4, v[16:17]
	v_mad_u64_u32 v[49:50], null, s9, v36, v[25:26]
	v_mov_b32_e32 v21, v45
	v_mad_u64_u32 v[50:51], null, s9, v37, v[27:28]
	v_lshlrev_b64 v[18:19], 4, v[18:19]
	v_mov_b32_e32 v23, v48
	v_add_co_u32 v53, s0, s2, v16
	v_mad_u64_u32 v[51:52], null, s9, v38, v[29:30]
	v_lshlrev_b64 v[20:21], 4, v[20:21]
	v_add_co_ci_u32_e64 v54, s0, s3, v17, s0
	v_mov_b32_e32 v25, v49
	v_mad_u64_u32 v[30:31], null, s9, v39, v[30:31]
	v_lshlrev_b64 v[22:23], 4, v[22:23]
	v_add_co_u32 v16, s0, v53, v18
	v_mov_b32_e32 v27, v50
	v_add_co_ci_u32_e64 v17, s0, v54, v19, s0
	v_lshlrev_b64 v[24:25], 4, v[24:25]
	v_add_co_u32 v20, s0, v53, v20
	v_mov_b32_e32 v29, v51
	v_add_co_ci_u32_e64 v21, s0, v54, v21, s0
	;; [unrolled: 4-line block ×3, first 2 shown]
	v_add_co_u32 v45, s0, v53, v24
	v_lshlrev_b64 v[51:52], 4, v[28:29]
	v_add_co_ci_u32_e64 v46, s0, v54, v25, s0
	v_add_co_u32 v49, s0, v53, v26
	v_lshlrev_b64 v[47:48], 4, v[47:48]
	v_add_co_ci_u32_e64 v50, s0, v54, v27, s0
	v_add_co_u32 v55, s0, v53, v51
	s_clause 0x1
	global_load_dwordx4 v[16:19], v[16:17], off
	global_load_dwordx4 v[20:23], v[20:21], off
	v_add_co_ci_u32_e64 v56, s0, v54, v52, s0
	v_add_co_u32 v63, s0, v53, v47
	s_clause 0x2
	global_load_dwordx4 v[24:27], v[43:44], off
	global_load_dwordx4 v[28:31], v[45:46], off
	;; [unrolled: 1-line block ×3, first 2 shown]
	v_add_co_ci_u32_e64 v64, s0, v54, v48, s0
	s_clause 0x1
	global_load_dwordx4 v[47:50], v41, s[12:13] offset:128
	global_load_dwordx4 v[51:54], v41, s[12:13] offset:160
	global_load_dwordx4 v[55:58], v[55:56], off
	global_load_dwordx4 v[59:62], v41, s[12:13] offset:192
	global_load_dwordx4 v[63:66], v[63:64], off
	s_waitcnt vmcnt(9)
	v_mul_f64 v[67:68], v[18:19], v[2:3]
	v_mul_f64 v[2:3], v[16:17], v[2:3]
	s_waitcnt vmcnt(8)
	v_mul_f64 v[69:70], v[22:23], v[6:7]
	v_mul_f64 v[6:7], v[20:21], v[6:7]
	;; [unrolled: 3-line block ×7, first 2 shown]
	v_fma_f64 v[14:15], v[16:17], v[0:1], v[67:68]
	v_fma_f64 v[16:17], v[18:19], v[0:1], -v[2:3]
	v_fma_f64 v[0:1], v[20:21], v[4:5], v[69:70]
	v_fma_f64 v[2:3], v[22:23], v[4:5], -v[6:7]
	;; [unrolled: 2-line block ×7, first 2 shown]
	v_lshl_add_u32 v12, v40, 4, v41
	ds_write_b128 v42, v[14:17]
	ds_write_b128 v12, v[0:3] offset:32
	ds_write_b128 v12, v[4:7] offset:64
	;; [unrolled: 1-line block ×6, first 2 shown]
.LBB0_3:
	s_or_b32 exec_lo, exec_lo, s1
	s_clause 0x1
	s_load_dwordx2 s[0:1], s[4:5], 0x20
	s_load_dwordx2 s[4:5], s[4:5], 0x8
	v_lshlrev_b32_e32 v43, 4, v40
	s_waitcnt lgkmcnt(0)
	s_barrier
	buffer_gl0_inv
                                        ; implicit-def: $vgpr18_vgpr19
                                        ; implicit-def: $vgpr14_vgpr15
                                        ; implicit-def: $vgpr10_vgpr11
                                        ; implicit-def: $vgpr6_vgpr7
                                        ; implicit-def: $vgpr2_vgpr3
                                        ; implicit-def: $vgpr20_vgpr21
                                        ; implicit-def: $vgpr24_vgpr25
	s_and_saveexec_b32 s2, vcc_lo
	s_cbranch_execz .LBB0_5
; %bb.4:
	v_lshl_add_u32 v24, v33, 4, v43
	ds_read_b128 v[0:3], v42
	ds_read_b128 v[4:7], v24 offset:32
	ds_read_b128 v[8:11], v24 offset:64
	;; [unrolled: 1-line block ×6, first 2 shown]
.LBB0_5:
	s_or_b32 exec_lo, exec_lo, s2
	s_waitcnt lgkmcnt(0)
	v_add_f64 v[28:29], v[4:5], v[24:25]
	v_add_f64 v[30:31], v[6:7], v[26:27]
	;; [unrolled: 1-line block ×4, first 2 shown]
	v_add_f64 v[8:9], v[8:9], -v[20:21]
	v_add_f64 v[10:11], v[10:11], -v[22:23]
	v_add_f64 v[20:21], v[16:17], v[12:13]
	v_add_f64 v[22:23], v[18:19], v[14:15]
	v_add_f64 v[12:13], v[16:17], -v[12:13]
	v_add_f64 v[14:15], v[18:19], -v[14:15]
	;; [unrolled: 1-line block ×4, first 2 shown]
	s_mov_b32 s8, 0xe976ee23
	s_mov_b32 s2, 0x36b3c0b5
	;; [unrolled: 1-line block ×10, first 2 shown]
	s_barrier
	v_add_f64 v[16:17], v[44:45], v[28:29]
	v_add_f64 v[18:19], v[46:47], v[30:31]
	buffer_gl0_inv
	v_add_f64 v[24:25], v[20:21], -v[44:45]
	v_add_f64 v[26:27], v[22:23], -v[46:47]
	;; [unrolled: 1-line block ×8, first 2 shown]
	v_add_f64 v[8:9], v[12:13], v[8:9]
	v_add_f64 v[10:11], v[14:15], v[10:11]
	v_add_f64 v[12:13], v[4:5], -v[12:13]
	v_add_f64 v[14:15], v[6:7], -v[14:15]
	v_add_f64 v[16:17], v[20:21], v[16:17]
	v_add_f64 v[18:19], v[22:23], v[18:19]
	v_add_f64 v[20:21], v[44:45], -v[28:29]
	v_add_f64 v[22:23], v[46:47], -v[30:31]
	v_mul_f64 v[28:29], v[24:25], s[2:3]
	v_mul_f64 v[30:31], v[26:27], s[2:3]
	;; [unrolled: 1-line block ×4, first 2 shown]
	s_mov_b32 s8, 0x37e14327
	s_mov_b32 s9, 0x3fe948f6
	v_mul_f64 v[48:49], v[52:53], s[8:9]
	v_mul_f64 v[50:51], v[54:55], s[8:9]
	;; [unrolled: 1-line block ×4, first 2 shown]
	s_mov_b32 s8, 0xaaaaaaaa
	s_mov_b32 s9, 0xbff2aaaa
	v_add_f64 v[4:5], v[8:9], v[4:5]
	v_add_f64 v[6:7], v[10:11], v[6:7]
	;; [unrolled: 1-line block ×4, first 2 shown]
	v_fma_f64 v[8:9], v[20:21], s[14:15], -v[28:29]
	v_fma_f64 v[10:11], v[22:23], s[14:15], -v[30:31]
	s_mov_b32 s15, 0xbfe77f67
	v_fma_f64 v[28:29], v[12:13], s[16:17], v[44:45]
	v_fma_f64 v[30:31], v[14:15], s[16:17], v[46:47]
	s_mov_b32 s17, 0xbfd5d0dc
	v_fma_f64 v[44:45], v[56:57], s[10:11], -v[44:45]
	v_fma_f64 v[46:47], v[58:59], s[10:11], -v[46:47]
	;; [unrolled: 1-line block ×6, first 2 shown]
	v_fma_f64 v[48:49], v[24:25], s[2:3], v[48:49]
	v_fma_f64 v[50:51], v[26:27], s[2:3], v[50:51]
	s_mov_b32 s2, 0x37c3f68c
	s_mov_b32 s3, 0x3fdc38aa
	v_fma_f64 v[16:17], v[16:17], s[8:9], v[0:1]
	v_fma_f64 v[18:19], v[18:19], s[8:9], v[2:3]
	;; [unrolled: 1-line block ×8, first 2 shown]
	v_add_f64 v[20:21], v[20:21], v[16:17]
	v_add_f64 v[22:23], v[22:23], v[18:19]
	v_add_f64 v[12:13], v[8:9], v[16:17]
	v_add_f64 v[14:15], v[10:11], v[18:19]
	v_add_f64 v[26:27], v[48:49], v[16:17]
	v_add_f64 v[30:31], v[50:51], v[18:19]
	v_add_f64 v[4:5], v[20:21], v[54:55]
	v_add_f64 v[6:7], v[22:23], -v[52:53]
	v_add_f64 v[8:9], v[12:13], -v[46:47]
	v_add_f64 v[10:11], v[44:45], v[14:15]
	v_add_f64 v[12:13], v[12:13], v[46:47]
	v_add_f64 v[14:15], v[14:15], -v[44:45]
	v_add_f64 v[16:17], v[20:21], -v[54:55]
	v_add_f64 v[18:19], v[52:53], v[22:23]
	v_add_f64 v[20:21], v[26:27], -v[24:25]
	v_add_f64 v[22:23], v[28:29], v[30:31]
	v_mul_lo_u16 v44, v33, 7
	s_and_saveexec_b32 s2, vcc_lo
	s_cbranch_execz .LBB0_7
; %bb.6:
	v_add_f64 v[28:29], v[30:31], -v[28:29]
	v_add_f64 v[26:27], v[26:27], v[24:25]
	v_and_b32_e32 v24, 0xffff, v44
	v_add_lshl_u32 v24, v40, v24, 4
	ds_write_b128 v24, v[0:3]
	ds_write_b128 v24, v[4:7] offset:32
	ds_write_b128 v24, v[8:11] offset:48
	;; [unrolled: 1-line block ×6, first 2 shown]
.LBB0_7:
	s_or_b32 exec_lo, exec_lo, s2
	s_load_dwordx4 s[0:3], s[0:1], 0x0
	s_waitcnt lgkmcnt(0)
	s_barrier
	buffer_gl0_inv
	global_load_dwordx4 v[0:3], v41, s[4:5]
	v_add_lshl_u32 v45, v40, v33, 4
	v_lshl_add_u32 v46, v33, 4, v43
	ds_read_b128 v[24:27], v45 offset:112
	s_waitcnt vmcnt(0) lgkmcnt(0)
	v_mul_f64 v[28:29], v[26:27], v[2:3]
	v_mul_f64 v[30:31], v[24:25], v[2:3]
	v_fma_f64 v[28:29], v[24:25], v[0:1], -v[28:29]
	v_fma_f64 v[30:31], v[26:27], v[0:1], v[30:31]
	ds_read_b128 v[24:27], v45
	s_waitcnt lgkmcnt(0)
	v_add_f64 v[28:29], v[24:25], -v[28:29]
	v_add_f64 v[30:31], v[26:27], -v[30:31]
	v_fma_f64 v[24:25], v[24:25], 2.0, -v[28:29]
	v_fma_f64 v[26:27], v[26:27], 2.0, -v[30:31]
	ds_write_b128 v46, v[28:31] offset:112
	ds_write_b128 v46, v[24:27]
	s_waitcnt lgkmcnt(0)
	s_barrier
	buffer_gl0_inv
	s_and_saveexec_b32 s8, vcc_lo
	s_cbranch_execz .LBB0_9
; %bb.8:
	global_load_dwordx4 v[47:50], v41, s[12:13] offset:224
	s_add_u32 s4, s12, 0xe0
	s_addc_u32 s5, s13, 0
	s_clause 0x5
	global_load_dwordx4 v[51:54], v41, s[4:5] offset:32
	global_load_dwordx4 v[55:58], v41, s[4:5] offset:64
	;; [unrolled: 1-line block ×6, first 2 shown]
	ds_read_b128 v[75:78], v42
	s_waitcnt vmcnt(6) lgkmcnt(0)
	v_mul_f64 v[79:80], v[77:78], v[49:50]
	v_mul_f64 v[49:50], v[75:76], v[49:50]
	v_fma_f64 v[75:76], v[75:76], v[47:48], -v[79:80]
	v_fma_f64 v[77:78], v[77:78], v[47:48], v[49:50]
	ds_write_b128 v42, v[75:78]
	ds_read_b128 v[47:50], v46 offset:32
	ds_read_b128 v[75:78], v46 offset:64
	ds_read_b128 v[79:82], v46 offset:96
	ds_read_b128 v[83:86], v46 offset:128
	ds_read_b128 v[87:90], v46 offset:160
	ds_read_b128 v[91:94], v46 offset:192
	s_waitcnt vmcnt(5) lgkmcnt(5)
	v_mul_f64 v[95:96], v[49:50], v[53:54]
	v_mul_f64 v[53:54], v[47:48], v[53:54]
	s_waitcnt vmcnt(4) lgkmcnt(4)
	v_mul_f64 v[97:98], v[77:78], v[57:58]
	v_mul_f64 v[57:58], v[75:76], v[57:58]
	;; [unrolled: 3-line block ×6, first 2 shown]
	v_fma_f64 v[47:48], v[47:48], v[51:52], -v[95:96]
	v_fma_f64 v[49:50], v[49:50], v[51:52], v[53:54]
	v_fma_f64 v[51:52], v[75:76], v[55:56], -v[97:98]
	v_fma_f64 v[53:54], v[77:78], v[55:56], v[57:58]
	;; [unrolled: 2-line block ×6, first 2 shown]
	ds_write_b128 v46, v[47:50] offset:32
	ds_write_b128 v46, v[51:54] offset:64
	;; [unrolled: 1-line block ×6, first 2 shown]
.LBB0_9:
	s_or_b32 exec_lo, exec_lo, s8
	s_waitcnt lgkmcnt(0)
	s_barrier
	buffer_gl0_inv
	s_and_saveexec_b32 s4, vcc_lo
	s_cbranch_execz .LBB0_11
; %bb.10:
	ds_read_b128 v[24:27], v42
	ds_read_b128 v[28:31], v46 offset:32
	ds_read_b128 v[4:7], v46 offset:64
	;; [unrolled: 1-line block ×6, first 2 shown]
.LBB0_11:
	s_or_b32 exec_lo, exec_lo, s4
	s_waitcnt lgkmcnt(0)
	s_barrier
	buffer_gl0_inv
	s_and_saveexec_b32 s4, vcc_lo
	s_cbranch_execz .LBB0_13
; %bb.12:
	v_add_f64 v[47:48], v[30:31], v[22:23]
	v_add_f64 v[49:50], v[6:7], v[18:19]
	;; [unrolled: 1-line block ×4, first 2 shown]
	v_add_f64 v[55:56], v[12:13], -v[8:9]
	v_add_f64 v[4:5], v[4:5], -v[16:17]
	v_add_f64 v[16:17], v[14:15], v[10:11]
	v_add_f64 v[10:11], v[14:15], -v[10:11]
	v_add_f64 v[14:15], v[6:7], -v[18:19]
	v_add_f64 v[6:7], v[12:13], v[8:9]
	v_add_f64 v[8:9], v[28:29], -v[20:21]
	v_add_f64 v[18:19], v[30:31], -v[22:23]
	s_mov_b32 s8, 0xe976ee23
	s_mov_b32 s9, 0x3fe11646
	;; [unrolled: 1-line block ×10, first 2 shown]
	v_and_b32_e32 v44, 0xffff, v44
	v_add_f64 v[12:13], v[49:50], v[47:48]
	v_add_f64 v[20:21], v[53:54], v[51:52]
	v_add_f64 v[22:23], v[55:56], -v[4:5]
	v_add_f64 v[28:29], v[47:48], -v[16:17]
	;; [unrolled: 1-line block ×9, first 2 shown]
	v_add_f64 v[55:56], v[55:56], v[4:5]
	v_add_f64 v[67:68], v[18:19], -v[10:11]
	v_add_f64 v[10:11], v[10:11], v[14:15]
	v_lshl_add_u32 v43, v44, 4, v43
	v_add_f64 v[12:13], v[16:17], v[12:13]
	v_add_f64 v[16:17], v[16:17], -v[49:50]
	v_add_f64 v[20:21], v[6:7], v[20:21]
	v_add_f64 v[49:50], v[53:54], -v[51:52]
	v_mul_f64 v[22:23], v[22:23], s[8:9]
	v_mul_f64 v[28:29], v[28:29], s[10:11]
	;; [unrolled: 1-line block ×3, first 2 shown]
	s_mov_b32 s8, 0x36b3c0b5
	v_mul_f64 v[51:52], v[57:58], s[10:11]
	s_mov_b32 s9, 0x3fac98ee
	v_mul_f64 v[53:54], v[59:60], s[14:15]
	s_mov_b32 s11, 0xbfd5d0dc
	s_mov_b32 s10, 0xb247c609
	v_add_f64 v[8:9], v[55:56], v[8:9]
	v_add_f64 v[10:11], v[10:11], v[18:19]
	;; [unrolled: 1-line block ×3, first 2 shown]
	v_mul_f64 v[26:27], v[61:62], s[14:15]
	v_add_f64 v[4:5], v[24:25], v[20:21]
	v_mul_f64 v[14:15], v[16:17], s[8:9]
	v_mul_f64 v[24:25], v[63:64], s[8:9]
	v_fma_f64 v[55:56], v[65:66], s[10:11], v[22:23]
	v_fma_f64 v[16:17], v[16:17], s[8:9], v[28:29]
	;; [unrolled: 1-line block ×3, first 2 shown]
	s_mov_b32 s11, 0x3fd5d0dc
	v_fma_f64 v[28:29], v[47:48], s[18:19], -v[28:29]
	v_fma_f64 v[69:70], v[49:50], s[18:19], -v[51:52]
	s_mov_b32 s19, 0x3fe77f67
	v_fma_f64 v[22:23], v[59:60], s[14:15], -v[22:23]
	v_fma_f64 v[53:54], v[65:66], s[10:11], -v[53:54]
	v_fma_f64 v[18:19], v[63:64], s[8:9], v[51:52]
	v_fma_f64 v[30:31], v[61:62], s[14:15], -v[30:31]
	s_mov_b32 s8, 0x37c3f68c
	s_mov_b32 s9, 0xbfdc38aa
	v_fma_f64 v[12:13], v[12:13], s[16:17], v[6:7]
	v_fma_f64 v[26:27], v[67:68], s[10:11], -v[26:27]
	v_fma_f64 v[20:21], v[20:21], s[16:17], v[4:5]
	v_fma_f64 v[14:15], v[47:48], s[18:19], -v[14:15]
	v_fma_f64 v[24:25], v[49:50], s[18:19], -v[24:25]
	v_fma_f64 v[47:48], v[8:9], s[8:9], v[55:56]
	v_fma_f64 v[49:50], v[10:11], s[8:9], v[57:58]
	;; [unrolled: 1-line block ×5, first 2 shown]
	v_add_f64 v[16:17], v[16:17], v[12:13]
	v_add_f64 v[28:29], v[28:29], v[12:13]
	;; [unrolled: 1-line block ×3, first 2 shown]
	v_fma_f64 v[53:54], v[10:11], s[8:9], v[26:27]
	v_add_f64 v[57:58], v[69:70], v[20:21]
	v_add_f64 v[12:13], v[14:15], v[12:13]
	;; [unrolled: 1-line block ×3, first 2 shown]
	v_add_f64 v[30:31], v[16:17], -v[47:48]
	v_add_f64 v[14:15], v[8:9], v[28:29]
	v_add_f64 v[26:27], v[28:29], -v[8:9]
	v_add_f64 v[28:29], v[55:56], v[49:50]
	v_add_f64 v[24:25], v[57:58], v[53:54]
	v_add_f64 v[18:19], v[12:13], -v[22:23]
	v_add_f64 v[22:23], v[22:23], v[12:13]
	v_add_f64 v[20:21], v[59:60], -v[51:52]
	v_add_f64 v[10:11], v[47:48], v[16:17]
	v_add_f64 v[16:17], v[59:60], v[51:52]
	v_add_f64 v[12:13], v[57:58], -v[53:54]
	v_add_f64 v[8:9], v[55:56], -v[49:50]
	ds_write_b128 v43, v[4:7]
	ds_write_b128 v43, v[28:31] offset:16
	ds_write_b128 v43, v[24:27] offset:32
	;; [unrolled: 1-line block ×6, first 2 shown]
.LBB0_13:
	s_or_b32 exec_lo, exec_lo, s4
	s_waitcnt lgkmcnt(0)
	s_barrier
	buffer_gl0_inv
	ds_read_b128 v[4:7], v45 offset:112
	s_waitcnt lgkmcnt(0)
	v_mul_f64 v[8:9], v[2:3], v[6:7]
	v_mul_f64 v[2:3], v[2:3], v[4:5]
	v_fma_f64 v[4:5], v[0:1], v[4:5], v[8:9]
	v_fma_f64 v[6:7], v[0:1], v[6:7], -v[2:3]
	ds_read_b128 v[0:3], v45
	s_waitcnt lgkmcnt(0)
	v_add_f64 v[4:5], v[0:1], -v[4:5]
	v_add_f64 v[6:7], v[2:3], -v[6:7]
	v_fma_f64 v[0:1], v[0:1], 2.0, -v[4:5]
	v_fma_f64 v[2:3], v[2:3], 2.0, -v[6:7]
	ds_write_b128 v46, v[4:7] offset:112
	ds_write_b128 v46, v[0:3]
	s_waitcnt lgkmcnt(0)
	s_barrier
	buffer_gl0_inv
	s_and_b32 exec_lo, exec_lo, vcc_lo
	s_cbranch_execz .LBB0_15
; %bb.14:
	s_clause 0x6
	global_load_dwordx4 v[0:3], v41, s[12:13]
	global_load_dwordx4 v[4:7], v41, s[12:13] offset:32
	global_load_dwordx4 v[8:11], v41, s[12:13] offset:64
	;; [unrolled: 1-line block ×6, first 2 shown]
	v_mad_u64_u32 v[64:65], null, s2, v32, 0
	v_mad_u64_u32 v[66:67], null, s0, v33, 0
	;; [unrolled: 1-line block ×5, first 2 shown]
	ds_read_b128 v[28:31], v42
	v_mad_u64_u32 v[74:75], null, s0, v37, 0
	v_lshl_add_u32 v60, v40, 4, v41
	v_mad_u64_u32 v[76:77], null, s0, v38, 0
	v_mad_u64_u32 v[78:79], null, s0, v39, 0
	;; [unrolled: 1-line block ×4, first 2 shown]
	ds_read_b128 v[40:43], v60 offset:32
	ds_read_b128 v[44:47], v60 offset:64
	;; [unrolled: 1-line block ×6, first 2 shown]
	v_mad_u64_u32 v[33:34], null, s1, v34, v[69:70]
	v_mad_u64_u32 v[34:35], null, s1, v35, v[71:72]
	;; [unrolled: 1-line block ×6, first 2 shown]
	v_mov_b32_e32 v71, v34
	v_mov_b32_e32 v65, v80
	;; [unrolled: 1-line block ×8, first 2 shown]
	v_lshlrev_b64 v[38:39], 4, v[70:71]
	v_lshlrev_b64 v[32:33], 4, v[64:65]
	;; [unrolled: 1-line block ×7, first 2 shown]
	s_mov_b32 s4, 0x92492492
	v_add_co_u32 v86, vcc_lo, s6, v32
	s_mov_b32 s5, 0x3fb24924
	v_add_co_ci_u32_e32 v87, vcc_lo, s7, v33, vcc_lo
	v_add_co_u32 v34, vcc_lo, v86, v34
	v_lshlrev_b64 v[32:33], 4, v[78:79]
	v_add_co_ci_u32_e32 v35, vcc_lo, v87, v35, vcc_lo
	v_add_co_u32 v36, vcc_lo, v86, v36
	v_add_co_ci_u32_e32 v37, vcc_lo, v87, v37, vcc_lo
	v_add_co_u32 v38, vcc_lo, v86, v38
	v_add_co_ci_u32_e32 v39, vcc_lo, v87, v39, vcc_lo
	s_waitcnt vmcnt(6) lgkmcnt(6)
	v_mul_f64 v[70:71], v[30:31], v[2:3]
	v_mul_f64 v[2:3], v[28:29], v[2:3]
	s_waitcnt vmcnt(5) lgkmcnt(5)
	v_mul_f64 v[72:73], v[42:43], v[6:7]
	v_mul_f64 v[6:7], v[40:41], v[6:7]
	;; [unrolled: 3-line block ×7, first 2 shown]
	v_fma_f64 v[28:29], v[28:29], v[0:1], v[70:71]
	v_fma_f64 v[2:3], v[0:1], v[30:31], -v[2:3]
	v_fma_f64 v[30:31], v[40:41], v[4:5], v[72:73]
	v_fma_f64 v[6:7], v[4:5], v[42:43], -v[6:7]
	;; [unrolled: 2-line block ×7, first 2 shown]
	v_mul_f64 v[0:1], v[28:29], s[4:5]
	v_mul_f64 v[2:3], v[2:3], s[4:5]
	;; [unrolled: 1-line block ×14, first 2 shown]
	v_add_co_u32 v28, vcc_lo, v86, v64
	v_add_co_ci_u32_e32 v29, vcc_lo, v87, v65, vcc_lo
	v_add_co_u32 v30, vcc_lo, v86, v66
	v_add_co_ci_u32_e32 v31, vcc_lo, v87, v67, vcc_lo
	;; [unrolled: 2-line block ×4, first 2 shown]
	global_store_dwordx4 v[34:35], v[0:3], off
	global_store_dwordx4 v[36:37], v[4:7], off
	global_store_dwordx4 v[38:39], v[8:11], off
	global_store_dwordx4 v[28:29], v[12:15], off
	global_store_dwordx4 v[30:31], v[16:19], off
	global_store_dwordx4 v[40:41], v[20:23], off
	global_store_dwordx4 v[32:33], v[24:27], off
.LBB0_15:
	s_endpgm
	.section	.rodata,"a",@progbits
	.p2align	6, 0x0
	.amdhsa_kernel bluestein_single_fwd_len14_dim1_dp_op_CI_CI
		.amdhsa_group_segment_fixed_size 4032
		.amdhsa_private_segment_fixed_size 0
		.amdhsa_kernarg_size 104
		.amdhsa_user_sgpr_count 6
		.amdhsa_user_sgpr_private_segment_buffer 1
		.amdhsa_user_sgpr_dispatch_ptr 0
		.amdhsa_user_sgpr_queue_ptr 0
		.amdhsa_user_sgpr_kernarg_segment_ptr 1
		.amdhsa_user_sgpr_dispatch_id 0
		.amdhsa_user_sgpr_flat_scratch_init 0
		.amdhsa_user_sgpr_private_segment_size 0
		.amdhsa_wavefront_size32 1
		.amdhsa_uses_dynamic_stack 0
		.amdhsa_system_sgpr_private_segment_wavefront_offset 0
		.amdhsa_system_sgpr_workgroup_id_x 1
		.amdhsa_system_sgpr_workgroup_id_y 0
		.amdhsa_system_sgpr_workgroup_id_z 0
		.amdhsa_system_sgpr_workgroup_info 0
		.amdhsa_system_vgpr_workitem_id 0
		.amdhsa_next_free_vgpr 107
		.amdhsa_next_free_sgpr 20
		.amdhsa_reserve_vcc 1
		.amdhsa_reserve_flat_scratch 0
		.amdhsa_float_round_mode_32 0
		.amdhsa_float_round_mode_16_64 0
		.amdhsa_float_denorm_mode_32 3
		.amdhsa_float_denorm_mode_16_64 3
		.amdhsa_dx10_clamp 1
		.amdhsa_ieee_mode 1
		.amdhsa_fp16_overflow 0
		.amdhsa_workgroup_processor_mode 1
		.amdhsa_memory_ordered 1
		.amdhsa_forward_progress 0
		.amdhsa_shared_vgpr_count 0
		.amdhsa_exception_fp_ieee_invalid_op 0
		.amdhsa_exception_fp_denorm_src 0
		.amdhsa_exception_fp_ieee_div_zero 0
		.amdhsa_exception_fp_ieee_overflow 0
		.amdhsa_exception_fp_ieee_underflow 0
		.amdhsa_exception_fp_ieee_inexact 0
		.amdhsa_exception_int_div_zero 0
	.end_amdhsa_kernel
	.text
.Lfunc_end0:
	.size	bluestein_single_fwd_len14_dim1_dp_op_CI_CI, .Lfunc_end0-bluestein_single_fwd_len14_dim1_dp_op_CI_CI
                                        ; -- End function
	.section	.AMDGPU.csdata,"",@progbits
; Kernel info:
; codeLenInByte = 4620
; NumSgprs: 22
; NumVgprs: 107
; ScratchSize: 0
; MemoryBound: 0
; FloatMode: 240
; IeeeMode: 1
; LDSByteSize: 4032 bytes/workgroup (compile time only)
; SGPRBlocks: 2
; VGPRBlocks: 13
; NumSGPRsForWavesPerEU: 22
; NumVGPRsForWavesPerEU: 107
; Occupancy: 9
; WaveLimiterHint : 1
; COMPUTE_PGM_RSRC2:SCRATCH_EN: 0
; COMPUTE_PGM_RSRC2:USER_SGPR: 6
; COMPUTE_PGM_RSRC2:TRAP_HANDLER: 0
; COMPUTE_PGM_RSRC2:TGID_X_EN: 1
; COMPUTE_PGM_RSRC2:TGID_Y_EN: 0
; COMPUTE_PGM_RSRC2:TGID_Z_EN: 0
; COMPUTE_PGM_RSRC2:TIDIG_COMP_CNT: 0
	.text
	.p2alignl 6, 3214868480
	.fill 48, 4, 3214868480
	.type	__hip_cuid_96f5b0788a42f4c0,@object ; @__hip_cuid_96f5b0788a42f4c0
	.section	.bss,"aw",@nobits
	.globl	__hip_cuid_96f5b0788a42f4c0
__hip_cuid_96f5b0788a42f4c0:
	.byte	0                               ; 0x0
	.size	__hip_cuid_96f5b0788a42f4c0, 1

	.ident	"AMD clang version 19.0.0git (https://github.com/RadeonOpenCompute/llvm-project roc-6.4.0 25133 c7fe45cf4b819c5991fe208aaa96edf142730f1d)"
	.section	".note.GNU-stack","",@progbits
	.addrsig
	.addrsig_sym __hip_cuid_96f5b0788a42f4c0
	.amdgpu_metadata
---
amdhsa.kernels:
  - .args:
      - .actual_access:  read_only
        .address_space:  global
        .offset:         0
        .size:           8
        .value_kind:     global_buffer
      - .actual_access:  read_only
        .address_space:  global
        .offset:         8
        .size:           8
        .value_kind:     global_buffer
      - .actual_access:  read_only
        .address_space:  global
        .offset:         16
        .size:           8
        .value_kind:     global_buffer
      - .actual_access:  read_only
        .address_space:  global
        .offset:         24
        .size:           8
        .value_kind:     global_buffer
      - .actual_access:  read_only
        .address_space:  global
        .offset:         32
        .size:           8
        .value_kind:     global_buffer
      - .offset:         40
        .size:           8
        .value_kind:     by_value
      - .address_space:  global
        .offset:         48
        .size:           8
        .value_kind:     global_buffer
      - .address_space:  global
        .offset:         56
        .size:           8
        .value_kind:     global_buffer
      - .address_space:  global
        .offset:         64
        .size:           8
        .value_kind:     global_buffer
      - .address_space:  global
        .offset:         72
        .size:           8
        .value_kind:     global_buffer
      - .offset:         80
        .size:           4
        .value_kind:     by_value
      - .address_space:  global
        .offset:         88
        .size:           8
        .value_kind:     global_buffer
      - .address_space:  global
        .offset:         96
        .size:           8
        .value_kind:     global_buffer
    .group_segment_fixed_size: 4032
    .kernarg_segment_align: 8
    .kernarg_segment_size: 104
    .language:       OpenCL C
    .language_version:
      - 2
      - 0
    .max_flat_workgroup_size: 126
    .name:           bluestein_single_fwd_len14_dim1_dp_op_CI_CI
    .private_segment_fixed_size: 0
    .sgpr_count:     22
    .sgpr_spill_count: 0
    .symbol:         bluestein_single_fwd_len14_dim1_dp_op_CI_CI.kd
    .uniform_work_group_size: 1
    .uses_dynamic_stack: false
    .vgpr_count:     107
    .vgpr_spill_count: 0
    .wavefront_size: 32
    .workgroup_processor_mode: 1
amdhsa.target:   amdgcn-amd-amdhsa--gfx1030
amdhsa.version:
  - 1
  - 2
...

	.end_amdgpu_metadata
